;; amdgpu-corpus repo=ROCm/rocFFT kind=compiled arch=gfx1030 opt=O3
	.text
	.amdgcn_target "amdgcn-amd-amdhsa--gfx1030"
	.amdhsa_code_object_version 6
	.protected	fft_rtc_back_len819_factors_9_7_13_wgs_117_tpt_117_sp_ip_CI_sbrr_dirReg ; -- Begin function fft_rtc_back_len819_factors_9_7_13_wgs_117_tpt_117_sp_ip_CI_sbrr_dirReg
	.globl	fft_rtc_back_len819_factors_9_7_13_wgs_117_tpt_117_sp_ip_CI_sbrr_dirReg
	.p2align	8
	.type	fft_rtc_back_len819_factors_9_7_13_wgs_117_tpt_117_sp_ip_CI_sbrr_dirReg,@function
fft_rtc_back_len819_factors_9_7_13_wgs_117_tpt_117_sp_ip_CI_sbrr_dirReg: ; @fft_rtc_back_len819_factors_9_7_13_wgs_117_tpt_117_sp_ip_CI_sbrr_dirReg
; %bb.0:
	s_clause 0x2
	s_load_dwordx2 s[14:15], s[4:5], 0x18
	s_load_dwordx4 s[8:11], s[4:5], 0x0
	s_load_dwordx2 s[12:13], s[4:5], 0x50
	v_mul_u32_u24_e32 v1, 0x231, v0
	v_mov_b32_e32 v3, 0
	v_add_nc_u32_sdwa v5, s6, v1 dst_sel:DWORD dst_unused:UNUSED_PAD src0_sel:DWORD src1_sel:WORD_1
	v_mov_b32_e32 v1, 0
	v_mov_b32_e32 v6, v3
	v_mov_b32_e32 v2, 0
	s_waitcnt lgkmcnt(0)
	s_load_dwordx2 s[2:3], s[14:15], 0x0
	v_cmp_lt_u64_e64 s0, s[10:11], 2
	s_and_b32 vcc_lo, exec_lo, s0
	s_cbranch_vccnz .LBB0_8
; %bb.1:
	s_load_dwordx2 s[0:1], s[4:5], 0x10
	v_mov_b32_e32 v1, 0
	s_add_u32 s6, s14, 8
	v_mov_b32_e32 v2, 0
	s_addc_u32 s7, s15, 0
	s_mov_b64 s[18:19], 1
	s_waitcnt lgkmcnt(0)
	s_add_u32 s16, s0, 8
	s_addc_u32 s17, s1, 0
.LBB0_2:                                ; =>This Inner Loop Header: Depth=1
	s_load_dwordx2 s[20:21], s[16:17], 0x0
                                        ; implicit-def: $vgpr8_vgpr9
	s_mov_b32 s0, exec_lo
	s_waitcnt lgkmcnt(0)
	v_or_b32_e32 v4, s21, v6
	v_cmpx_ne_u64_e32 0, v[3:4]
	s_xor_b32 s1, exec_lo, s0
	s_cbranch_execz .LBB0_4
; %bb.3:                                ;   in Loop: Header=BB0_2 Depth=1
	v_cvt_f32_u32_e32 v4, s20
	v_cvt_f32_u32_e32 v7, s21
	s_sub_u32 s0, 0, s20
	s_subb_u32 s22, 0, s21
	v_fmac_f32_e32 v4, 0x4f800000, v7
	v_rcp_f32_e32 v4, v4
	v_mul_f32_e32 v4, 0x5f7ffffc, v4
	v_mul_f32_e32 v7, 0x2f800000, v4
	v_trunc_f32_e32 v7, v7
	v_fmac_f32_e32 v4, 0xcf800000, v7
	v_cvt_u32_f32_e32 v7, v7
	v_cvt_u32_f32_e32 v4, v4
	v_mul_lo_u32 v8, s0, v7
	v_mul_hi_u32 v9, s0, v4
	v_mul_lo_u32 v10, s22, v4
	v_add_nc_u32_e32 v8, v9, v8
	v_mul_lo_u32 v9, s0, v4
	v_add_nc_u32_e32 v8, v8, v10
	v_mul_hi_u32 v10, v4, v9
	v_mul_lo_u32 v11, v4, v8
	v_mul_hi_u32 v12, v4, v8
	v_mul_hi_u32 v13, v7, v9
	v_mul_lo_u32 v9, v7, v9
	v_mul_hi_u32 v14, v7, v8
	v_mul_lo_u32 v8, v7, v8
	v_add_co_u32 v10, vcc_lo, v10, v11
	v_add_co_ci_u32_e32 v11, vcc_lo, 0, v12, vcc_lo
	v_add_co_u32 v9, vcc_lo, v10, v9
	v_add_co_ci_u32_e32 v9, vcc_lo, v11, v13, vcc_lo
	v_add_co_ci_u32_e32 v10, vcc_lo, 0, v14, vcc_lo
	v_add_co_u32 v8, vcc_lo, v9, v8
	v_add_co_ci_u32_e32 v9, vcc_lo, 0, v10, vcc_lo
	v_add_co_u32 v4, vcc_lo, v4, v8
	v_add_co_ci_u32_e32 v7, vcc_lo, v7, v9, vcc_lo
	v_mul_hi_u32 v8, s0, v4
	v_mul_lo_u32 v10, s22, v4
	v_mul_lo_u32 v9, s0, v7
	v_add_nc_u32_e32 v8, v8, v9
	v_mul_lo_u32 v9, s0, v4
	v_add_nc_u32_e32 v8, v8, v10
	v_mul_hi_u32 v10, v4, v9
	v_mul_lo_u32 v11, v4, v8
	v_mul_hi_u32 v12, v4, v8
	v_mul_hi_u32 v13, v7, v9
	v_mul_lo_u32 v9, v7, v9
	v_mul_hi_u32 v14, v7, v8
	v_mul_lo_u32 v8, v7, v8
	v_add_co_u32 v10, vcc_lo, v10, v11
	v_add_co_ci_u32_e32 v11, vcc_lo, 0, v12, vcc_lo
	v_add_co_u32 v9, vcc_lo, v10, v9
	v_add_co_ci_u32_e32 v9, vcc_lo, v11, v13, vcc_lo
	v_add_co_ci_u32_e32 v10, vcc_lo, 0, v14, vcc_lo
	v_add_co_u32 v8, vcc_lo, v9, v8
	v_add_co_ci_u32_e32 v9, vcc_lo, 0, v10, vcc_lo
	v_add_co_u32 v4, vcc_lo, v4, v8
	v_add_co_ci_u32_e32 v11, vcc_lo, v7, v9, vcc_lo
	v_mul_hi_u32 v13, v5, v4
	v_mad_u64_u32 v[9:10], null, v6, v4, 0
	v_mad_u64_u32 v[7:8], null, v5, v11, 0
	;; [unrolled: 1-line block ×3, first 2 shown]
	v_add_co_u32 v4, vcc_lo, v13, v7
	v_add_co_ci_u32_e32 v7, vcc_lo, 0, v8, vcc_lo
	v_add_co_u32 v4, vcc_lo, v4, v9
	v_add_co_ci_u32_e32 v4, vcc_lo, v7, v10, vcc_lo
	v_add_co_ci_u32_e32 v7, vcc_lo, 0, v12, vcc_lo
	v_add_co_u32 v4, vcc_lo, v4, v11
	v_add_co_ci_u32_e32 v9, vcc_lo, 0, v7, vcc_lo
	v_mul_lo_u32 v10, s21, v4
	v_mad_u64_u32 v[7:8], null, s20, v4, 0
	v_mul_lo_u32 v11, s20, v9
	v_sub_co_u32 v7, vcc_lo, v5, v7
	v_add3_u32 v8, v8, v11, v10
	v_sub_nc_u32_e32 v10, v6, v8
	v_subrev_co_ci_u32_e64 v10, s0, s21, v10, vcc_lo
	v_add_co_u32 v11, s0, v4, 2
	v_add_co_ci_u32_e64 v12, s0, 0, v9, s0
	v_sub_co_u32 v13, s0, v7, s20
	v_sub_co_ci_u32_e32 v8, vcc_lo, v6, v8, vcc_lo
	v_subrev_co_ci_u32_e64 v10, s0, 0, v10, s0
	v_cmp_le_u32_e32 vcc_lo, s20, v13
	v_cmp_eq_u32_e64 s0, s21, v8
	v_cndmask_b32_e64 v13, 0, -1, vcc_lo
	v_cmp_le_u32_e32 vcc_lo, s21, v10
	v_cndmask_b32_e64 v14, 0, -1, vcc_lo
	v_cmp_le_u32_e32 vcc_lo, s20, v7
	;; [unrolled: 2-line block ×3, first 2 shown]
	v_cndmask_b32_e64 v15, 0, -1, vcc_lo
	v_cmp_eq_u32_e32 vcc_lo, s21, v10
	v_cndmask_b32_e64 v7, v15, v7, s0
	v_cndmask_b32_e32 v10, v14, v13, vcc_lo
	v_add_co_u32 v13, vcc_lo, v4, 1
	v_add_co_ci_u32_e32 v14, vcc_lo, 0, v9, vcc_lo
	v_cmp_ne_u32_e32 vcc_lo, 0, v10
	v_cndmask_b32_e32 v8, v14, v12, vcc_lo
	v_cndmask_b32_e32 v10, v13, v11, vcc_lo
	v_cmp_ne_u32_e32 vcc_lo, 0, v7
	v_cndmask_b32_e32 v9, v9, v8, vcc_lo
	v_cndmask_b32_e32 v8, v4, v10, vcc_lo
.LBB0_4:                                ;   in Loop: Header=BB0_2 Depth=1
	s_andn2_saveexec_b32 s0, s1
	s_cbranch_execz .LBB0_6
; %bb.5:                                ;   in Loop: Header=BB0_2 Depth=1
	v_cvt_f32_u32_e32 v4, s20
	s_sub_i32 s1, 0, s20
	v_rcp_iflag_f32_e32 v4, v4
	v_mul_f32_e32 v4, 0x4f7ffffe, v4
	v_cvt_u32_f32_e32 v4, v4
	v_mul_lo_u32 v7, s1, v4
	v_mul_hi_u32 v7, v4, v7
	v_add_nc_u32_e32 v4, v4, v7
	v_mul_hi_u32 v4, v5, v4
	v_mul_lo_u32 v7, v4, s20
	v_add_nc_u32_e32 v8, 1, v4
	v_sub_nc_u32_e32 v7, v5, v7
	v_subrev_nc_u32_e32 v9, s20, v7
	v_cmp_le_u32_e32 vcc_lo, s20, v7
	v_cndmask_b32_e32 v7, v7, v9, vcc_lo
	v_cndmask_b32_e32 v4, v4, v8, vcc_lo
	v_mov_b32_e32 v9, v3
	v_cmp_le_u32_e32 vcc_lo, s20, v7
	v_add_nc_u32_e32 v8, 1, v4
	v_cndmask_b32_e32 v8, v4, v8, vcc_lo
.LBB0_6:                                ;   in Loop: Header=BB0_2 Depth=1
	s_or_b32 exec_lo, exec_lo, s0
	s_load_dwordx2 s[0:1], s[6:7], 0x0
	v_mul_lo_u32 v4, v9, s20
	v_mul_lo_u32 v7, v8, s21
	v_mad_u64_u32 v[10:11], null, v8, s20, 0
	s_add_u32 s18, s18, 1
	s_addc_u32 s19, s19, 0
	s_add_u32 s6, s6, 8
	s_addc_u32 s7, s7, 0
	;; [unrolled: 2-line block ×3, first 2 shown]
	v_add3_u32 v4, v11, v7, v4
	v_sub_co_u32 v5, vcc_lo, v5, v10
	v_sub_co_ci_u32_e32 v4, vcc_lo, v6, v4, vcc_lo
	s_waitcnt lgkmcnt(0)
	v_mul_lo_u32 v6, s1, v5
	v_mul_lo_u32 v4, s0, v4
	v_mad_u64_u32 v[1:2], null, s0, v5, v[1:2]
	v_cmp_ge_u64_e64 s0, s[18:19], s[10:11]
	s_and_b32 vcc_lo, exec_lo, s0
	v_add3_u32 v2, v6, v2, v4
	s_cbranch_vccnz .LBB0_9
; %bb.7:                                ;   in Loop: Header=BB0_2 Depth=1
	v_mov_b32_e32 v5, v8
	v_mov_b32_e32 v6, v9
	s_branch .LBB0_2
.LBB0_8:
	v_mov_b32_e32 v9, v6
	v_mov_b32_e32 v8, v5
.LBB0_9:
	s_lshl_b64 s[0:1], s[10:11], 3
	v_mul_hi_u32 v3, 0x2302303, v0
	s_add_u32 s0, s14, s0
	s_addc_u32 s1, s15, s1
	v_mov_b32_e32 v13, 0
	s_load_dwordx2 s[0:1], s[0:1], 0x0
	s_load_dwordx2 s[4:5], s[4:5], 0x20
	v_mov_b32_e32 v12, 0
	v_mov_b32_e32 v11, 0
	;; [unrolled: 1-line block ×3, first 2 shown]
	v_mul_u32_u24_e32 v3, 0x75, v3
	v_mov_b32_e32 v7, 0
	v_mov_b32_e32 v6, 0
                                        ; implicit-def: $vgpr17
                                        ; implicit-def: $vgpr15
	v_sub_nc_u32_e32 v28, v0, v3
                                        ; implicit-def: $vgpr3
	s_waitcnt lgkmcnt(0)
	v_mul_lo_u32 v4, s0, v9
	v_mul_lo_u32 v5, s1, v8
	v_mad_u64_u32 v[1:2], null, s0, v8, v[1:2]
	v_cmp_gt_u64_e32 vcc_lo, s[4:5], v[8:9]
	v_cmp_gt_u32_e64 s0, 0x5b, v28
                                        ; implicit-def: $vgpr9
	s_and_b32 s1, vcc_lo, s0
	v_add3_u32 v2, v5, v2, v4
	v_mov_b32_e32 v5, 0
	v_mov_b32_e32 v4, 0
	v_lshlrev_b64 v[24:25], 3, v[1:2]
                                        ; implicit-def: $vgpr1
	s_and_saveexec_b32 s4, s1
	s_cbranch_execz .LBB0_11
; %bb.10:
	v_add_nc_u32_e32 v8, 0x5b, v28
	v_add_nc_u32_e32 v10, 0xb6, v28
	v_mad_u64_u32 v[0:1], null, s2, v28, 0
	v_add_nc_u32_e32 v11, 0x111, v28
	v_mad_u64_u32 v[2:3], null, s2, v8, 0
	v_mad_u64_u32 v[4:5], null, s2, v10, 0
	v_add_co_u32 v29, s1, s12, v24
	v_add_co_ci_u32_e64 v30, s1, s13, v25, s1
	v_mad_u64_u32 v[6:7], null, s3, v28, v[1:2]
	v_mad_u64_u32 v[7:8], null, s3, v8, v[3:4]
	;; [unrolled: 1-line block ×3, first 2 shown]
	v_add_nc_u32_e32 v12, 0x222, v28
	v_add_nc_u32_e32 v31, 0x27d, v28
	v_mov_b32_e32 v1, v6
	v_mad_u64_u32 v[5:6], null, s3, v10, v[5:6]
	v_mov_b32_e32 v3, v7
	v_mov_b32_e32 v6, v9
	v_add_nc_u32_e32 v10, 0x16c, v28
	v_lshlrev_b64 v[0:1], 3, v[0:1]
	v_mad_u64_u32 v[18:19], null, s2, v12, 0
	v_mad_u64_u32 v[6:7], null, s3, v11, v[6:7]
	;; [unrolled: 1-line block ×3, first 2 shown]
	v_add_nc_u32_e32 v11, 0x1c7, v28
	v_lshlrev_b64 v[2:3], 3, v[2:3]
	v_add_co_u32 v0, s1, v29, v0
	v_mov_b32_e32 v9, v6
	v_lshlrev_b64 v[4:5], 3, v[4:5]
	v_mov_b32_e32 v6, v15
	v_mad_u64_u32 v[16:17], null, s2, v11, 0
	v_lshlrev_b64 v[7:8], 3, v[8:9]
	v_add_co_ci_u32_e64 v1, s1, v30, v1, s1
	v_add_co_u32 v2, s1, v29, v2
	v_add_co_ci_u32_e64 v3, s1, v30, v3, s1
	v_add_co_u32 v4, s1, v29, v4
	v_mad_u64_u32 v[9:10], null, s3, v10, v[6:7]
	v_add_co_ci_u32_e64 v5, s1, v30, v5, s1
	v_mov_b32_e32 v6, v17
	v_add_co_u32 v7, s1, v29, v7
	v_add_nc_u32_e32 v32, 0x2d8, v28
	v_mad_u64_u32 v[20:21], null, s2, v31, 0
	v_mov_b32_e32 v15, v9
	v_mad_u64_u32 v[9:10], null, s3, v11, v[6:7]
	v_mov_b32_e32 v6, v19
	v_add_co_ci_u32_e64 v8, s1, v30, v8, s1
	v_mad_u64_u32 v[26:27], null, s2, v32, 0
	v_mad_u64_u32 v[22:23], null, s3, v12, v[6:7]
	s_clause 0x3
	global_load_dwordx2 v[0:1], v[0:1], off
	global_load_dwordx2 v[12:13], v[2:3], off
	;; [unrolled: 1-line block ×4, first 2 shown]
	v_lshlrev_b64 v[3:4], 3, v[14:15]
	v_mov_b32_e32 v2, v21
	v_mov_b32_e32 v17, v9
	;; [unrolled: 1-line block ×3, first 2 shown]
	v_mad_u64_u32 v[8:9], null, s3, v31, v[2:3]
	v_mov_b32_e32 v2, v27
	v_add_co_u32 v3, s1, v29, v3
	v_lshlrev_b64 v[14:15], 3, v[16:17]
	v_add_co_ci_u32_e64 v4, s1, v30, v4, s1
	v_mad_u64_u32 v[16:17], null, s3, v32, v[2:3]
	v_lshlrev_b64 v[17:18], 3, v[18:19]
	v_mov_b32_e32 v21, v8
	v_add_co_u32 v8, s1, v29, v14
	v_add_co_ci_u32_e64 v9, s1, v30, v15, s1
	v_mov_b32_e32 v27, v16
	v_lshlrev_b64 v[14:15], 3, v[20:21]
	v_add_co_u32 v16, s1, v29, v17
	v_add_co_ci_u32_e64 v17, s1, v30, v18, s1
	v_lshlrev_b64 v[18:19], 3, v[26:27]
	v_add_co_u32 v14, s1, v29, v14
	v_add_co_ci_u32_e64 v15, s1, v30, v15, s1
	v_add_co_u32 v18, s1, v29, v18
	v_add_co_ci_u32_e64 v19, s1, v30, v19, s1
	s_clause 0x4
	global_load_dwordx2 v[4:5], v[3:4], off
	global_load_dwordx2 v[2:3], v[8:9], off
	;; [unrolled: 1-line block ×5, first 2 shown]
.LBB0_11:
	s_or_b32 exec_lo, exec_lo, s4
	s_waitcnt vmcnt(1)
	v_sub_f32_e32 v19, v10, v14
	v_sub_f32_e32 v18, v11, v15
	s_waitcnt vmcnt(0)
	v_add_f32_e32 v21, v12, v16
	v_sub_f32_e32 v20, v12, v16
	v_sub_f32_e32 v16, v13, v17
	v_add_f32_e32 v23, v13, v17
	v_add_f32_e32 v30, v11, v15
	v_sub_f32_e32 v17, v4, v2
	v_sub_f32_e32 v15, v5, v3
	v_add_f32_e32 v27, v4, v2
	v_add_f32_e32 v29, v5, v3
	v_mul_f32_e32 v33, 0x3f7c1c5c, v19
	v_mul_f32_e32 v34, 0x3f7c1c5c, v18
	v_sub_f32_e32 v32, v6, v8
	v_sub_f32_e32 v31, v7, v9
	v_add_f32_e32 v22, v10, v14
	v_add_f32_e32 v14, v6, v8
	v_fmamk_f32 v6, v21, 0x3f441b7d, v0
	v_fmamk_f32 v8, v23, 0x3f441b7d, v1
	v_add_f32_e32 v26, v7, v9
	v_mul_f32_e32 v7, 0x3f248dbb, v17
	v_mul_f32_e32 v9, 0x3f248dbb, v15
	v_fmamk_f32 v10, v27, 0x3f441b7d, v0
	v_fmamk_f32 v11, v29, 0x3f441b7d, v1
	v_fmac_f32_e32 v33, 0x3f248dbb, v20
	v_fmac_f32_e32 v34, 0x3f248dbb, v16
	;; [unrolled: 1-line block ×4, first 2 shown]
	v_fma_f32 v7, 0x3f7c1c5c, v20, -v7
	v_fma_f32 v35, 0x3f7c1c5c, v16, -v9
	v_fmac_f32_e32 v10, 0x3e31d0d4, v21
	v_fmac_f32_e32 v11, 0x3e31d0d4, v23
	;; [unrolled: 1-line block ×4, first 2 shown]
	v_fmac_f32_e32 v6, -0.5, v14
	v_fmac_f32_e32 v8, -0.5, v26
	v_fmac_f32_e32 v7, 0xbf5db3d7, v32
	v_fmac_f32_e32 v35, 0xbf5db3d7, v31
	v_fmac_f32_e32 v10, -0.5, v14
	v_fmac_f32_e32 v11, -0.5, v26
	v_fmac_f32_e32 v33, 0x3eaf1d44, v17
	v_fmac_f32_e32 v34, 0x3eaf1d44, v15
	;; [unrolled: 1-line block ×8, first 2 shown]
	v_sub_f32_e32 v12, v6, v34
	v_add_f32_e32 v13, v8, v33
	v_sub_f32_e32 v10, v10, v35
	v_add_f32_e32 v11, v11, v7
	v_fma_f32 v8, 2.0, v34, v12
	v_fma_f32 v9, -2.0, v33, v13
	v_fma_f32 v6, 2.0, v35, v10
	v_fma_f32 v7, -2.0, v7, v11
	s_and_saveexec_b32 s1, s0
	s_cbranch_execz .LBB0_13
; %bb.12:
	v_mul_f32_e32 v33, 0x3f7c1c5c, v17
	v_fmamk_f32 v34, v30, 0x3f441b7d, v1
	v_mul_f32_e32 v32, 0x3f5db3d7, v32
	v_mul_f32_e32 v36, 0.5, v26
	v_mul_f32_e32 v37, 0x3f7c1c5c, v15
	v_fma_f32 v33, 0xbf248dbb, v19, -v33
	v_fmac_f32_e32 v34, 0x3e31d0d4, v29
	v_fmamk_f32 v38, v22, 0x3f441b7d, v0
	v_add_f32_e32 v30, v23, v30
	v_mul_f32_e32 v31, 0x3f5db3d7, v31
	v_mul_f32_e32 v35, 0.5, v14
	v_add_f32_e32 v32, v32, v33
	v_sub_f32_e32 v33, v34, v36
	v_fma_f32 v34, 0xbf248dbb, v18, -v37
	v_fmac_f32_e32 v38, 0x3e31d0d4, v27
	v_add_f32_e32 v36, v26, v30
	v_fmac_f32_e32 v32, 0x3eaf1d44, v20
	v_fmac_f32_e32 v33, 0xbf708fb2, v23
	v_add_f32_e32 v31, v31, v34
	v_sub_f32_e32 v34, v38, v35
	v_add_f32_e32 v5, v5, v36
	v_add_f32_e32 v20, v17, v20
	v_add_f32_e32 v23, v32, v33
	v_fmac_f32_e32 v31, 0x3eaf1d44, v16
	v_fmac_f32_e32 v34, 0xbf708fb2, v21
	v_add_f32_e32 v21, v21, v22
	v_add_f32_e32 v5, v3, v5
	v_fma_f32 v3, -2.0, v32, v23
	v_add_f32_e32 v17, v1, v26
	v_add_f32_e32 v15, v15, v16
	;; [unrolled: 1-line block ×8, first 2 shown]
	v_sub_f32_e32 v19, v20, v19
	v_fmac_f32_e32 v17, -0.5, v1
	v_sub_f32_e32 v1, v15, v18
	v_fmac_f32_e32 v16, -0.5, v14
	v_add_f32_e32 v2, v2, v4
	v_sub_f32_e32 v22, v34, v31
	v_mul_f32_e32 v14, 0x3f5db3d7, v19
	v_fmac_f32_e32 v17, 0x3f5db3d7, v19
	v_mul_f32_e32 v15, 0x3f5db3d7, v1
	v_fmac_f32_e32 v16, 0xbf5db3d7, v1
	v_add_f32_e32 v4, v0, v2
	v_mad_u32_u24 v18, 0x48, v28, 0
	v_fma_f32 v2, 2.0, v31, v22
	v_fma_f32 v1, -2.0, v14, v17
	v_fma_f32 v0, 2.0, v15, v16
	ds_write2_b64 v18, v[4:5], v[12:13] offset1:1
	ds_write2_b64 v18, v[10:11], v[16:17] offset0:2 offset1:3
	ds_write2_b64 v18, v[22:23], v[2:3] offset0:4 offset1:5
	;; [unrolled: 1-line block ×3, first 2 shown]
	ds_write_b64 v18, v[8:9] offset:64
.LBB0_13:
	s_or_b32 exec_lo, exec_lo, s1
	v_and_b32_e32 v0, 0xff, v28
	v_mov_b32_e32 v1, 6
	s_waitcnt lgkmcnt(0)
	s_barrier
	buffer_gl0_inv
	v_mul_lo_u16 v0, v0, 57
	v_lshl_add_u32 v26, v28, 3, 0
	v_mov_b32_e32 v38, 0x1f8
	v_mov_b32_e32 v39, 3
	v_cmp_gt_u32_e64 s0, 63, v28
	v_lshrrev_b16 v27, 9, v0
	v_add_nc_u32_e32 v10, 0x400, v26
	v_add_nc_u32_e32 v11, 0xc00, v26
	v_mul_lo_u16 v0, v27, 9
	v_mul_u32_u24_sdwa v27, v27, v38 dst_sel:DWORD dst_unused:UNUSED_PAD src0_sel:WORD_0 src1_sel:DWORD
	v_sub_nc_u16 v37, v28, v0
	v_mul_u32_u24_sdwa v0, v37, v1 dst_sel:DWORD dst_unused:UNUSED_PAD src0_sel:BYTE_0 src1_sel:DWORD
	v_lshlrev_b32_sdwa v37, v39, v37 dst_sel:DWORD dst_unused:UNUSED_PAD src0_sel:DWORD src1_sel:BYTE_0
	v_lshlrev_b32_e32 v4, 3, v0
	v_add3_u32 v27, 0, v27, v37
	s_clause 0x2
	global_load_dwordx4 v[0:3], v4, s[8:9]
	global_load_dwordx4 v[12:15], v4, s[8:9] offset:16
	global_load_dwordx4 v[16:19], v4, s[8:9] offset:32
	ds_read2_b64 v[20:23], v26 offset1:117
	ds_read2_b64 v[29:32], v10 offset0:106 offset1:223
	ds_read2_b64 v[33:36], v11 offset0:84 offset1:201
	ds_read_b64 v[4:5], v26 offset:5616
	s_waitcnt vmcnt(0) lgkmcnt(0)
	s_barrier
	buffer_gl0_inv
	v_mul_f32_e32 v37, v1, v23
	v_mul_f32_e32 v1, v1, v22
	;; [unrolled: 1-line block ×12, first 2 shown]
	v_fmac_f32_e32 v37, v0, v22
	v_fma_f32 v0, v0, v23, -v1
	v_fmac_f32_e32 v38, v2, v29
	v_fma_f32 v1, v2, v30, -v3
	v_fmac_f32_e32 v42, v18, v4
	v_fma_f32 v3, v18, v5, -v19
	v_fmac_f32_e32 v41, v16, v35
	v_fma_f32 v5, v16, v36, -v17
	v_fmac_f32_e32 v39, v12, v31
	v_fma_f32 v2, v12, v32, -v13
	v_fmac_f32_e32 v40, v14, v33
	v_fma_f32 v4, v14, v34, -v15
	v_add_f32_e32 v12, v37, v42
	v_add_f32_e32 v13, v0, v3
	v_sub_f32_e32 v0, v0, v3
	v_add_f32_e32 v3, v38, v41
	v_add_f32_e32 v15, v1, v5
	v_sub_f32_e32 v14, v37, v42
	v_sub_f32_e32 v16, v38, v41
	;; [unrolled: 1-line block ×3, first 2 shown]
	v_add_f32_e32 v5, v39, v40
	v_add_f32_e32 v17, v2, v4
	v_sub_f32_e32 v18, v40, v39
	v_sub_f32_e32 v2, v4, v2
	v_add_f32_e32 v4, v3, v12
	v_add_f32_e32 v19, v15, v13
	v_sub_f32_e32 v22, v3, v12
	v_sub_f32_e32 v23, v15, v13
	;; [unrolled: 1-line block ×6, first 2 shown]
	v_add_f32_e32 v29, v18, v16
	v_add_f32_e32 v30, v2, v1
	v_sub_f32_e32 v31, v18, v16
	v_sub_f32_e32 v32, v2, v1
	;; [unrolled: 1-line block ×4, first 2 shown]
	v_add_f32_e32 v4, v5, v4
	v_add_f32_e32 v5, v17, v19
	v_sub_f32_e32 v18, v14, v18
	v_sub_f32_e32 v2, v0, v2
	v_add_f32_e32 v14, v29, v14
	v_add_f32_e32 v17, v30, v0
	v_mul_f32_e32 v12, 0x3f4a47b2, v12
	v_mul_f32_e32 v13, 0x3f4a47b2, v13
	;; [unrolled: 1-line block ×8, first 2 shown]
	v_add_f32_e32 v0, v4, v20
	v_add_f32_e32 v1, v5, v21
	v_fmamk_f32 v3, v3, 0x3d64c772, v12
	v_fmamk_f32 v15, v15, 0x3d64c772, v13
	v_fma_f32 v19, 0x3f3bfb3b, v22, -v19
	v_fma_f32 v20, 0x3f3bfb3b, v23, -v29
	;; [unrolled: 1-line block ×4, first 2 shown]
	v_fmamk_f32 v21, v18, 0xbeae86e6, v30
	v_fmamk_f32 v22, v2, 0xbeae86e6, v31
	v_fma_f32 v23, 0xbf5ff5aa, v16, -v30
	v_fma_f32 v29, 0xbf5ff5aa, v33, -v31
	;; [unrolled: 1-line block ×4, first 2 shown]
	v_fmamk_f32 v2, v4, 0xbf955555, v0
	v_fmamk_f32 v4, v5, 0xbf955555, v1
	v_fmac_f32_e32 v21, 0xbee1c552, v14
	v_fmac_f32_e32 v22, 0xbee1c552, v17
	;; [unrolled: 1-line block ×6, first 2 shown]
	v_add_f32_e32 v5, v3, v2
	v_add_f32_e32 v32, v15, v4
	;; [unrolled: 1-line block ×7, first 2 shown]
	v_sub_f32_e32 v3, v32, v21
	v_add_f32_e32 v16, v31, v15
	v_sub_f32_e32 v17, v33, v30
	v_sub_f32_e32 v18, v14, v29
	v_add_f32_e32 v19, v23, v4
	v_add_f32_e32 v12, v29, v14
	v_sub_f32_e32 v13, v4, v23
	v_sub_f32_e32 v14, v15, v31
	v_add_f32_e32 v15, v30, v33
	v_sub_f32_e32 v4, v5, v22
	v_add_f32_e32 v5, v21, v32
	ds_write2_b64 v27, v[0:1], v[2:3] offset1:9
	ds_write2_b64 v27, v[16:17], v[18:19] offset0:18 offset1:27
	ds_write2_b64 v27, v[12:13], v[14:15] offset0:36 offset1:45
	ds_write_b64 v27, v[4:5] offset:432
	s_waitcnt lgkmcnt(0)
	s_barrier
	buffer_gl0_inv
                                        ; implicit-def: $vgpr27
                                        ; implicit-def: $vgpr23
	s_and_saveexec_b32 s1, s0
	s_cbranch_execnz .LBB0_16
; %bb.14:
	s_or_b32 exec_lo, exec_lo, s1
	s_and_b32 s0, vcc_lo, s0
	s_and_saveexec_b32 s1, s0
	s_cbranch_execnz .LBB0_17
.LBB0_15:
	s_endpgm
.LBB0_16:
	v_add_nc_u32_e32 v4, 0x800, v26
	v_add_nc_u32_e32 v20, 0x1000, v26
	ds_read2_b64 v[0:3], v26 offset1:63
	ds_read2_b64 v[16:19], v26 offset0:126 offset1:189
	ds_read2_b64 v[12:15], v10 offset0:124 offset1:187
	;; [unrolled: 1-line block ×5, first 2 shown]
	ds_read_b64 v[26:27], v26 offset:6048
	s_or_b32 exec_lo, exec_lo, s1
	s_and_b32 s0, vcc_lo, s0
	s_and_saveexec_b32 s1, s0
	s_cbranch_execz .LBB0_15
.LBB0_17:
	v_mul_u32_u24_e32 v29, 12, v28
	v_lshlrev_b32_e32 v29, 3, v29
	s_clause 0x5
	global_load_dwordx4 v[41:44], v29, s[8:9] offset:512
	global_load_dwordx4 v[45:48], v29, s[8:9] offset:432
	global_load_dwordx4 v[49:52], v29, s[8:9] offset:496
	global_load_dwordx4 v[53:56], v29, s[8:9] offset:448
	global_load_dwordx4 v[57:60], v29, s[8:9] offset:480
	global_load_dwordx4 v[61:64], v29, s[8:9] offset:464
	s_waitcnt vmcnt(5) lgkmcnt(0)
	v_mul_f32_e32 v37, v26, v44
	s_waitcnt vmcnt(4)
	v_mul_f32_e32 v38, v2, v46
	v_mul_f32_e32 v46, v3, v46
	;; [unrolled: 1-line block ×7, first 2 shown]
	s_waitcnt vmcnt(2)
	v_mul_f32_e32 v42, v18, v54
	v_mul_f32_e32 v39, v19, v54
	;; [unrolled: 1-line block ×6, first 2 shown]
	s_waitcnt vmcnt(1)
	v_mul_f32_e32 v50, v8, v60
	s_waitcnt vmcnt(0)
	v_mul_f32_e32 v56, v14, v62
	v_mul_f32_e32 v33, v9, v60
	;; [unrolled: 1-line block ×4, first 2 shown]
	v_fma_f32 v58, v3, v45, -v38
	v_fmac_f32_e32 v46, v2, v45
	v_fmac_f32_e32 v44, v16, v47
	v_fma_f32 v16, v27, v43, -v37
	v_mul_f32_e32 v66, v20, v52
	v_mul_f32_e32 v31, v21, v52
	v_mul_f32_e32 v36, v15, v62
	v_fma_f32 v52, v17, v47, -v65
	v_fmac_f32_e32 v29, v26, v43
	v_fma_f32 v17, v23, v41, -v48
	v_fmac_f32_e32 v30, v22, v41
	;; [unrolled: 2-line block ×4, first 2 shown]
	v_fma_f32 v37, v15, v61, -v56
	v_add_f32_e32 v47, v16, v58
	v_sub_f32_e32 v53, v58, v16
	v_add_f32_e32 v55, v1, v58
	v_add_f32_e32 v56, v0, v46
	v_fma_f32 v18, v21, v51, -v66
	v_fmac_f32_e32 v31, v20, v51
	v_fma_f32 v19, v11, v49, -v54
	v_fmac_f32_e32 v32, v10, v49
	v_fmac_f32_e32 v36, v14, v61
	;; [unrolled: 1-line block ×3, first 2 shown]
	v_fma_f32 v14, v7, v57, -v60
	v_fmac_f32_e32 v34, v6, v57
	v_sub_f32_e32 v12, v46, v29
	v_add_f32_e32 v48, v17, v52
	v_sub_f32_e32 v10, v44, v30
	v_add_f32_e32 v8, v29, v46
	v_add_f32_e32 v7, v30, v44
	v_sub_f32_e32 v54, v52, v17
	v_mul_f32_e32 v57, 0xbf788fa5, v47
	v_mul_f32_e32 v69, 0xbf3f9e67, v47
	;; [unrolled: 1-line block ×3, first 2 shown]
	v_add_f32_e32 v52, v55, v52
	v_add_f32_e32 v44, v56, v44
	v_mul_f32_e32 v62, v4, v64
	v_fma_f32 v20, v9, v59, -v50
	v_add_f32_e32 v45, v18, v42
	v_sub_f32_e32 v9, v39, v31
	v_add_f32_e32 v6, v31, v39
	v_sub_f32_e32 v41, v42, v18
	v_mul_f32_e32 v58, 0x3f62ad3f, v48
	v_mul_f32_e32 v59, 0xbe750f2a, v53
	v_mul_f32_e32 v70, 0x3df6dbef, v48
	v_mul_f32_e32 v71, 0xbf29c268, v53
	v_mul_f32_e32 v81, 0xbeb58ec6, v47
	v_mul_f32_e32 v84, 0x3f29c268, v54
	v_mul_f32_e32 v87, 0x3df6dbef, v47
	v_fmamk_f32 v96, v12, 0x3e750f2a, v57
	v_fmamk_f32 v100, v12, 0x3f29c268, v69
	v_add_f32_e32 v42, v52, v42
	v_fmamk_f32 v52, v8, 0xbeb58ec6, v83
	v_add_f32_e32 v39, v44, v39
	v_fma_f32 v83, 0xbeb58ec6, v8, -v83
	v_mul_f32_e32 v35, v5, v64
	v_fma_f32 v15, v5, v63, -v62
	v_add_f32_e32 v27, v19, v43
	v_sub_f32_e32 v38, v43, v19
	v_mul_f32_e32 v60, 0xbf3f9e67, v45
	v_mul_f32_e32 v62, 0x3eedf032, v54
	;; [unrolled: 1-line block ×8, first 2 shown]
	v_fmamk_f32 v97, v8, 0xbf788fa5, v59
	v_fmamk_f32 v98, v10, 0xbeedf032, v58
	;; [unrolled: 1-line block ×6, first 2 shown]
	v_add_f32_e32 v96, v1, v96
	v_add_f32_e32 v42, v42, v43
	v_fmamk_f32 v43, v12, 0x3f7e222b, v87
	v_add_f32_e32 v39, v39, v40
	v_add_f32_e32 v100, v1, v100
	v_fma_f32 v84, 0xbf3f9e67, v7, -v84
	v_add_f32_e32 v83, v0, v83
	v_fmac_f32_e32 v35, v4, v63
	v_sub_f32_e32 v4, v40, v32
	v_add_f32_e32 v2, v32, v40
	v_sub_f32_e32 v13, v36, v33
	v_add_f32_e32 v3, v33, v36
	v_mul_f32_e32 v63, 0xbf29c268, v41
	v_mul_f32_e32 v74, 0xbf52af12, v41
	;; [unrolled: 1-line block ×7, first 2 shown]
	v_fmamk_f32 v99, v7, 0x3f62ad3f, v62
	v_fmamk_f32 v103, v7, 0x3df6dbef, v72
	;; [unrolled: 1-line block ×3, first 2 shown]
	v_add_f32_e32 v97, v0, v97
	v_fmamk_f32 v40, v10, 0x3e750f2a, v88
	v_add_f32_e32 v96, v96, v98
	v_fmamk_f32 v98, v8, 0x3df6dbef, v89
	v_add_f32_e32 v102, v0, v102
	v_add_f32_e32 v104, v1, v104
	;; [unrolled: 1-line block ×3, first 2 shown]
	v_fmamk_f32 v101, v12, 0x3f52af12, v91
	v_add_f32_e32 v52, v0, v52
	v_add_f32_e32 v43, v1, v43
	;; [unrolled: 1-line block ×3, first 2 shown]
	v_fmamk_f32 v84, v9, 0x3f29c268, v60
	v_add_f32_e32 v36, v39, v36
	v_fmamk_f32 v39, v9, 0x3f52af12, v73
	v_add_f32_e32 v21, v20, v37
	v_sub_f32_e32 v22, v37, v20
	v_mul_f32_e32 v85, 0x3f62ad3f, v45
	v_mul_f32_e32 v50, 0xbf6f5d39, v54
	;; [unrolled: 1-line block ×6, first 2 shown]
	v_add_f32_e32 v97, v97, v99
	v_fmamk_f32 v99, v7, 0xbf788fa5, v90
	v_add_f32_e32 v102, v102, v103
	v_fmamk_f32 v103, v10, 0x3f6f5d39, v92
	;; [unrolled: 2-line block ×3, first 2 shown]
	v_add_f32_e32 v44, v52, v44
	v_add_f32_e32 v98, v0, v98
	;; [unrolled: 1-line block ×4, first 2 shown]
	v_fmamk_f32 v43, v12, 0x3eedf032, v49
	v_fma_f32 v59, 0xbf788fa5, v8, -v59
	v_fma_f32 v71, 0xbf3f9e67, v8, -v71
	v_fmac_f32_e32 v81, 0xbf6f5d39, v12
	v_add_f32_e32 v37, v42, v37
	v_fmamk_f32 v42, v6, 0xbf3f9e67, v63
	v_add_f32_e32 v84, v96, v84
	v_fmamk_f32 v96, v6, 0x3f116cb1, v74
	;; [unrolled: 2-line block ×3, first 2 shown]
	v_mul_f32_e32 v46, 0xbf52af12, v54
	v_mul_f32_e32 v93, 0x3f6f5d39, v41
	;; [unrolled: 1-line block ×4, first 2 shown]
	v_fmamk_f32 v52, v7, 0xbeb58ec6, v50
	v_add_f32_e32 v105, v0, v105
	v_add_f32_e32 v98, v98, v99
	v_fmamk_f32 v99, v8, 0x3f62ad3f, v47
	v_add_f32_e32 v101, v101, v103
	v_fmamk_f32 v103, v10, 0x3f52af12, v48
	v_add_f32_e32 v43, v1, v43
	v_fmac_f32_e32 v57, 0xbe750f2a, v12
	v_fmac_f32_e32 v69, 0xbf29c268, v12
	v_fma_f32 v62, 0x3f62ad3f, v7, -v62
	v_add_f32_e32 v59, v0, v59
	v_fma_f32 v72, 0x3df6dbef, v7, -v72
	v_add_f32_e32 v71, v0, v71
	v_fmac_f32_e32 v82, 0x3f29c268, v10
	v_add_f32_e32 v81, v1, v81
	v_add_f32_e32 v42, v97, v42
	v_fmamk_f32 v97, v9, 0xbeedf032, v85
	v_add_f32_e32 v96, v102, v96
	v_fmamk_f32 v102, v9, 0xbf6f5d39, v56
	v_add_f32_e32 v44, v44, v100
	v_fmamk_f32 v100, v9, 0x3e750f2a, v94
	v_add_f32_e32 v23, v14, v15
	v_mul_f32_e32 v61, 0x3f116cb1, v27
	v_mul_f32_e32 v64, 0x3f52af12, v38
	;; [unrolled: 1-line block ×4, first 2 shown]
	v_add_f32_e32 v52, v105, v52
	v_fmamk_f32 v105, v7, 0x3f116cb1, v46
	v_add_f32_e32 v99, v0, v99
	v_add_f32_e32 v43, v43, v103
	v_fmac_f32_e32 v58, 0x3eedf032, v10
	v_add_f32_e32 v57, v1, v57
	v_fmac_f32_e32 v70, 0x3f7e222b, v10
	v_add_f32_e32 v69, v1, v69
	v_add_f32_e32 v59, v59, v62
	v_mul_f32_e32 v62, 0x3f62ad3f, v27
	v_add_f32_e32 v71, v71, v72
	v_add_f32_e32 v81, v81, v82
	v_mul_f32_e32 v82, 0xbf3f9e67, v27
	v_add_f32_e32 v97, v104, v97
	v_fmamk_f32 v104, v6, 0xbeb58ec6, v93
	v_add_f32_e32 v40, v40, v102
	v_fmamk_f32 v102, v6, 0xbf788fa5, v95
	v_mul_f32_e32 v106, 0xbeb58ec6, v27
	v_add_f32_e32 v27, v101, v100
	v_fmamk_f32 v100, v9, 0x3f7e222b, v45
	v_fma_f32 v74, 0x3f116cb1, v6, -v74
	v_sub_f32_e32 v26, v15, v14
	v_mul_f32_e32 v67, 0x3df6dbef, v23
	v_mul_f32_e32 v76, 0x3e750f2a, v38
	;; [unrolled: 1-line block ×4, first 2 shown]
	v_add_f32_e32 v99, v99, v105
	v_mul_f32_e32 v105, 0x3f116cb1, v23
	v_add_f32_e32 v57, v57, v58
	v_add_f32_e32 v69, v69, v70
	v_mul_f32_e32 v70, 0x3eedf032, v38
	v_add_f32_e32 v98, v98, v104
	v_mul_f32_e32 v104, 0x3f29c268, v38
	;; [unrolled: 2-line block ×3, first 2 shown]
	v_fmac_f32_e32 v60, 0xbf29c268, v9
	v_add_f32_e32 v38, v43, v100
	v_mul_f32_e32 v100, 0xbf3f9e67, v23
	v_fmac_f32_e32 v73, 0xbf52af12, v9
	v_fmac_f32_e32 v85, 0x3eedf032, v9
	v_add_f32_e32 v71, v71, v74
	v_mul_f32_e32 v74, 0x3f62ad3f, v23
	v_mul_f32_e32 v108, 0xbf788fa5, v23
	v_fmamk_f32 v23, v2, 0x3f116cb1, v64
	v_sub_f32_e32 v11, v35, v34
	v_add_f32_e32 v5, v34, v35
	v_mul_f32_e32 v66, 0xbf6f5d39, v22
	v_mul_f32_e32 v68, 0x3f7e222b, v26
	;; [unrolled: 1-line block ×8, first 2 shown]
	v_fma_f32 v63, 0xbf3f9e67, v6, -v63
	v_add_f32_e32 v57, v57, v60
	v_mul_f32_e32 v60, 0xbf29c268, v26
	v_add_f32_e32 v69, v69, v73
	v_mul_f32_e32 v73, 0x3f7e222b, v22
	;; [unrolled: 2-line block ×3, first 2 shown]
	v_mul_f32_e32 v107, 0xbf29c268, v22
	v_mul_f32_e32 v109, 0xbe750f2a, v26
	v_fmamk_f32 v22, v4, 0xbf52af12, v61
	v_add_f32_e32 v26, v36, v35
	v_fmamk_f32 v35, v4, 0xbe750f2a, v75
	v_add_f32_e32 v23, v42, v23
	v_fmamk_f32 v42, v4, 0xbeedf032, v62
	v_mul_f32_e32 v65, 0xbeb58ec6, v21
	v_mul_f32_e32 v77, 0x3f62ad3f, v21
	;; [unrolled: 1-line block ×3, first 2 shown]
	v_fmamk_f32 v101, v6, 0x3df6dbef, v41
	v_add_f32_e32 v59, v59, v63
	v_add_f32_e32 v15, v37, v15
	;; [unrolled: 1-line block ×3, first 2 shown]
	v_fmamk_f32 v36, v2, 0xbf788fa5, v76
	v_fmamk_f32 v37, v4, 0x3f7e222b, v53
	v_add_f32_e32 v35, v39, v35
	v_fmamk_f32 v39, v2, 0x3df6dbef, v54
	v_add_f32_e32 v40, v40, v42
	v_fmamk_f32 v42, v2, 0xbf3f9e67, v104
	v_fmamk_f32 v84, v4, 0x3f6f5d39, v106
	v_fmac_f32_e32 v61, 0x3f52af12, v4
	v_fma_f32 v64, 0x3f116cb1, v2, -v64
	v_fmac_f32_e32 v75, 0x3e750f2a, v4
	v_fma_f32 v76, 0xbf788fa5, v2, -v76
	v_fmac_f32_e32 v53, 0xbf7e222b, v4
	v_add_f32_e32 v99, v99, v101
	v_mul_f32_e32 v63, 0x3df6dbef, v21
	v_fma_f32 v86, 0x3f62ad3f, v6, -v86
	v_mul_f32_e32 v101, 0xbf3f9e67, v21
	v_add_f32_e32 v39, v44, v39
	v_fmamk_f32 v44, v4, 0xbf29c268, v82
	v_add_f32_e32 v42, v52, v42
	v_fmamk_f32 v52, v13, 0x3f6f5d39, v65
	;; [unrolled: 2-line block ×5, first 2 shown]
	v_add_f32_e32 v69, v69, v75
	v_add_f32_e32 v71, v71, v76
	v_fmamk_f32 v76, v3, 0xbf788fa5, v103
	v_add_f32_e32 v53, v81, v53
	v_fmamk_f32 v81, v13, 0x3f52af12, v72
	v_add_f32_e32 v14, v14, v15
	v_fma_f32 v66, 0xbeb58ec6, v3, -v66
	v_fmac_f32_e32 v77, 0x3eedf032, v13
	v_fma_f32 v78, 0x3f62ad3f, v3, -v78
	v_mul_f32_e32 v55, 0xbf788fa5, v21
	v_add_f32_e32 v21, v83, v86
	v_add_f32_e32 v27, v27, v44
	v_fmamk_f32 v44, v2, 0xbeb58ec6, v102
	v_fmamk_f32 v86, v11, 0xbf7e222b, v67
	;; [unrolled: 1-line block ×3, first 2 shown]
	v_add_f32_e32 v26, v34, v26
	v_fmamk_f32 v34, v3, 0x3df6dbef, v73
	v_add_f32_e32 v22, v22, v52
	v_fmamk_f32 v52, v13, 0x3f29c268, v101
	v_add_f32_e32 v39, v39, v76
	v_add_f32_e32 v40, v40, v81
	v_fmamk_f32 v81, v5, 0x3f116cb1, v58
	v_add_f32_e32 v59, v59, v66
	v_add_f32_e32 v66, v69, v77
	;; [unrolled: 1-line block ×6, first 2 shown]
	v_fma_f32 v54, 0x3df6dbef, v2, -v54
	v_add_f32_e32 v44, v99, v44
	v_add_f32_e32 v35, v35, v61
	v_fmamk_f32 v61, v3, 0xbf3f9e67, v107
	v_fmac_f32_e32 v65, 0xbf6f5d39, v13
	v_add_f32_e32 v97, v27, v15
	v_add_f32_e32 v42, v42, v34
	;; [unrolled: 1-line block ×3, first 2 shown]
	v_fmamk_f32 v52, v5, 0x3f62ad3f, v85
	v_add_f32_e32 v77, v33, v26
	v_add_f32_e32 v15, v22, v86
	;; [unrolled: 1-line block ×4, first 2 shown]
	v_fmamk_f32 v75, v13, 0xbe750f2a, v55
	v_add_f32_e32 v21, v21, v54
	v_add_f32_e32 v36, v36, v64
	v_fmamk_f32 v64, v11, 0x3f6f5d39, v79
	v_fmac_f32_e32 v55, 0x3e750f2a, v13
	v_fma_f32 v96, 0xbf788fa5, v3, -v103
	v_add_f32_e32 v44, v44, v61
	v_add_f32_e32 v57, v57, v65
	v_fmamk_f32 v65, v5, 0xbf788fa5, v109
	v_fmac_f32_e32 v87, 0xbf7e222b, v12
	v_fma_f32 v89, 0x3df6dbef, v8, -v89
	v_add_f32_e32 v33, v42, v52
	v_add_f32_e32 v32, v32, v77
	;; [unrolled: 1-line block ×9, first 2 shown]
	v_fmac_f32_e32 v88, 0xbe750f2a, v10
	v_add_f32_e32 v32, v1, v87
	v_add_f32_e32 v42, v0, v89
	v_fma_f32 v44, 0xbf788fa5, v7, -v90
	v_add_f32_e32 v30, v30, v31
	v_fmac_f32_e32 v91, 0xbf52af12, v12
	v_add_f32_e32 v31, v32, v88
	v_add_f32_e32 v17, v16, v17
	;; [unrolled: 1-line block ×3, first 2 shown]
	v_fma_f32 v42, 0xbeb58ec6, v6, -v93
	v_fmac_f32_e32 v56, 0x3f6f5d39, v9
	v_add_f32_e32 v16, v29, v30
	v_fmac_f32_e32 v92, 0xbf6f5d39, v10
	v_fmamk_f32 v83, v2, 0x3f62ad3f, v70
	v_add_f32_e32 v30, v32, v42
	v_add_f32_e32 v32, v1, v91
	;; [unrolled: 1-line block ×3, first 2 shown]
	v_fmac_f32_e32 v62, 0x3eedf032, v4
	v_fma_f32 v31, 0x3f62ad3f, v2, -v70
	v_fmac_f32_e32 v94, 0xbe750f2a, v9
	v_add_f32_e32 v32, v32, v92
	v_fma_f32 v42, 0x3f116cb1, v8, -v51
	v_add_f32_e32 v83, v98, v83
	v_fmamk_f32 v54, v3, 0x3f116cb1, v43
	v_add_f32_e32 v29, v29, v62
	v_fmac_f32_e32 v72, 0xbf52af12, v13
	v_add_f32_e32 v30, v30, v31
	v_fma_f32 v31, 0x3f116cb1, v3, -v43
	v_add_f32_e32 v32, v32, v94
	v_fmac_f32_e32 v82, 0x3f29c268, v4
	v_add_f32_e32 v42, v0, v42
	v_fma_f32 v43, 0xbeb58ec6, v7, -v50
	v_fmac_f32_e32 v49, 0xbeedf032, v12
	v_add_f32_e32 v54, v83, v54
	v_fmamk_f32 v83, v11, 0x3f29c268, v100
	v_add_f32_e32 v29, v29, v72
	v_add_f32_e32 v31, v30, v31
	v_fmac_f32_e32 v100, 0xbf29c268, v11
	v_fma_f32 v44, 0xbf3f9e67, v5, -v60
	v_add_f32_e32 v12, v32, v82
	v_add_f32_e32 v32, v42, v43
	v_fmac_f32_e32 v63, 0x3f7e222b, v13
	v_fma_f32 v42, 0xbf788fa5, v6, -v95
	v_add_f32_e32 v1, v1, v49
	v_fmac_f32_e32 v48, 0xbf52af12, v10
	v_add_f32_e32 v30, v29, v100
	v_add_f32_e32 v29, v31, v44
	;; [unrolled: 1-line block ×4, first 2 shown]
	v_fma_f32 v31, 0xbf3f9e67, v2, -v104
	v_add_f32_e32 v1, v1, v48
	v_fmac_f32_e32 v45, 0xbf7e222b, v9
	v_fma_f32 v8, 0x3f62ad3f, v8, -v47
	v_fmac_f32_e32 v106, 0xbf6f5d39, v4
	v_add_f32_e32 v9, v12, v31
	v_fma_f32 v12, 0x3df6dbef, v3, -v73
	v_add_f32_e32 v1, v1, v45
	v_fmamk_f32 v34, v11, 0xbeedf032, v74
	v_fmac_f32_e32 v74, 0x3eedf032, v11
	v_add_f32_e32 v0, v0, v8
	v_add_f32_e32 v8, v9, v12
	;; [unrolled: 1-line block ×3, first 2 shown]
	v_fmac_f32_e32 v101, 0xbf29c268, v13
	v_fma_f32 v4, 0x3f116cb1, v7, -v46
	v_fma_f32 v9, 0x3f62ad3f, v5, -v85
	v_add_f32_e32 v7, v10, v74
	v_fma_f32 v13, 0x3df6dbef, v6, -v41
	v_add_f32_e32 v10, v12, v101
	v_add_nc_u32_e32 v12, 63, v28
	v_add_f32_e32 v4, v0, v4
	v_add_f32_e32 v6, v8, v9
	v_fma_f32 v2, 0xbeb58ec6, v2, -v102
	v_mad_u64_u32 v[0:1], null, s2, v28, 0
	v_mad_u64_u32 v[8:9], null, s2, v12, 0
	v_add_f32_e32 v4, v4, v13
	v_fmamk_f32 v61, v11, 0x3e750f2a, v108
	v_fmac_f32_e32 v108, 0xbe750f2a, v11
	v_fma_f32 v32, 0xbf3f9e67, v3, -v107
	v_add_nc_u32_e32 v31, 0x7e, v28
	v_add_f32_e32 v13, v4, v2
	v_mov_b32_e32 v4, v9
	v_add_f32_e32 v23, v23, v84
	v_fmamk_f32 v84, v5, 0x3df6dbef, v68
	v_add_f32_e32 v37, v37, v75
	v_fmamk_f32 v75, v5, 0xbeb58ec6, v80
	v_fmamk_f32 v76, v11, 0xbf52af12, v105
	;; [unrolled: 1-line block ×3, first 2 shown]
	v_fmac_f32_e32 v67, 0x3f7e222b, v11
	v_fma_f32 v68, 0x3df6dbef, v5, -v68
	v_fmac_f32_e32 v79, 0xbf6f5d39, v11
	v_fma_f32 v80, 0xbeb58ec6, v5, -v80
	;; [unrolled: 2-line block ×3, first 2 shown]
	v_mad_u64_u32 v[1:2], null, s3, v28, v[1:2]
	v_add_f32_e32 v11, v10, v108
	v_add_f32_e32 v10, v13, v32
	v_fma_f32 v13, 0xbf788fa5, v5, -v109
	v_mad_u64_u32 v[4:5], null, s3, v12, v[4:5]
	v_mad_u64_u32 v[2:3], null, s2, v31, 0
	v_add_co_u32 v41, vcc_lo, s12, v24
	v_lshlrev_b64 v[0:1], 3, v[0:1]
	v_add_nc_u32_e32 v24, 0xbd, v28
	v_mov_b32_e32 v9, v4
	v_add_co_ci_u32_e32 v42, vcc_lo, s13, v25, vcc_lo
	v_mad_u64_u32 v[3:4], null, s3, v31, v[3:4]
	v_lshlrev_b64 v[4:5], 3, v[8:9]
	v_mad_u64_u32 v[8:9], null, s2, v24, 0
	v_add_co_u32 v0, vcc_lo, v41, v0
	v_add_co_ci_u32_e32 v1, vcc_lo, v42, v1, vcc_lo
	v_add_nc_u32_e32 v25, 0xfc, v28
	v_add_f32_e32 v10, v10, v13
	v_lshlrev_b64 v[2:3], 3, v[2:3]
	global_store_dwordx2 v[0:1], v[16:17], off
	v_add_co_u32 v0, vcc_lo, v41, v4
	v_mov_b32_e32 v4, v9
	v_mad_u64_u32 v[12:13], null, s2, v25, 0
	v_add_co_ci_u32_e32 v1, vcc_lo, v42, v5, vcc_lo
	v_mad_u64_u32 v[4:5], null, s3, v24, v[4:5]
	v_add_nc_u32_e32 v31, 0x13b, v28
	v_add_co_u32 v2, vcc_lo, v41, v2
	v_mov_b32_e32 v5, v13
	v_add_nc_u32_e32 v32, 0x17a, v28
	v_mad_u64_u32 v[16:17], null, s2, v31, 0
	v_add_f32_e32 v20, v36, v75
	v_add_f32_e32 v34, v97, v34
	;; [unrolled: 1-line block ×3, first 2 shown]
	v_add_co_ci_u32_e32 v3, vcc_lo, v42, v3, vcc_lo
	v_mov_b32_e32 v9, v4
	v_mad_u64_u32 v[24:25], null, s3, v25, v[5:6]
	v_mad_u64_u32 v[4:5], null, s2, v32, 0
	global_store_dwordx2 v[0:1], v[35:36], off
	global_store_dwordx2 v[2:3], v[33:34], off
	v_lshlrev_b64 v[1:2], 3, v[8:9]
	v_mov_b32_e32 v0, v17
	v_mov_b32_e32 v13, v24
	v_add_nc_u32_e32 v33, 0x1b9, v28
	v_add_f32_e32 v27, v40, v83
	v_add_f32_e32 v26, v54, v98
	v_mad_u64_u32 v[8:9], null, s3, v31, v[0:1]
	v_mov_b32_e32 v0, v5
	v_add_co_u32 v1, vcc_lo, v41, v1
	v_lshlrev_b64 v[12:13], 3, v[12:13]
	v_add_co_ci_u32_e32 v2, vcc_lo, v42, v2, vcc_lo
	v_mad_u64_u32 v[24:25], null, s3, v32, v[0:1]
	v_mad_u64_u32 v[31:32], null, s2, v33, 0
	v_mov_b32_e32 v17, v8
	v_add_co_u32 v8, vcc_lo, v41, v12
	global_store_dwordx2 v[1:2], v[26:27], off
	v_mov_b32_e32 v5, v24
	v_lshlrev_b64 v[1:2], 3, v[16:17]
	v_add_f32_e32 v14, v23, v84
	v_add_f32_e32 v23, v37, v76
	v_add_co_ci_u32_e32 v9, vcc_lo, v42, v13, vcc_lo
	v_mov_b32_e32 v0, v32
	v_lshlrev_b64 v[3:4], 3, v[4:5]
	v_add_nc_u32_e32 v12, 0x1f8, v28
	global_store_dwordx2 v[8:9], v[22:23], off
	v_add_nc_u32_e32 v16, 0x237, v28
	v_mad_u64_u32 v[8:9], null, s3, v33, v[0:1]
	v_add_co_u32 v0, vcc_lo, v41, v1
	v_add_co_ci_u32_e32 v1, vcc_lo, v42, v2, vcc_lo
	v_add_co_u32 v2, vcc_lo, v41, v3
	v_add_co_ci_u32_e32 v3, vcc_lo, v42, v4, vcc_lo
	v_mov_b32_e32 v32, v8
	v_mad_u64_u32 v[4:5], null, s2, v12, 0
	v_add_nc_u32_e32 v17, 0x276, v28
	global_store_dwordx2 v[0:1], v[20:21], off
	global_store_dwordx2 v[2:3], v[14:15], off
	v_mad_u64_u32 v[2:3], null, s2, v16, 0
	v_lshlrev_b64 v[0:1], 3, v[31:32]
	v_mad_u64_u32 v[8:9], null, s2, v17, 0
	v_add_nc_u32_e32 v22, 0x2b5, v28
	v_mad_u64_u32 v[12:13], null, s3, v12, v[5:6]
	v_mad_u64_u32 v[13:14], null, s3, v16, v[3:4]
	v_mad_u64_u32 v[14:15], null, s2, v22, 0
	v_add_co_u32 v0, vcc_lo, v41, v0
	v_add_nc_u32_e32 v23, 0x2f4, v28
	v_add_f32_e32 v38, v57, v67
	v_add_f32_e32 v37, v59, v68
	v_add_co_ci_u32_e32 v1, vcc_lo, v42, v1, vcc_lo
	v_mov_b32_e32 v3, v9
	v_mad_u64_u32 v[20:21], null, s2, v23, 0
	global_store_dwordx2 v[0:1], v[37:38], off
	v_mov_b32_e32 v0, v15
	v_mad_u64_u32 v[16:17], null, s3, v17, v[3:4]
	v_mov_b32_e32 v3, v13
	v_mov_b32_e32 v5, v12
	v_mad_u64_u32 v[0:1], null, s3, v22, v[0:1]
	v_mov_b32_e32 v1, v21
	v_lshlrev_b64 v[2:3], 3, v[2:3]
	v_lshlrev_b64 v[4:5], 3, v[4:5]
	v_mov_b32_e32 v9, v16
	v_add_f32_e32 v19, v66, v79
	v_add_f32_e32 v18, v69, v80
	v_mov_b32_e32 v15, v0
	v_mad_u64_u32 v[12:13], null, s3, v23, v[1:2]
	v_add_co_u32 v4, vcc_lo, v41, v4
	v_add_co_ci_u32_e32 v5, vcc_lo, v42, v5, vcc_lo
	v_lshlrev_b64 v[8:9], 3, v[8:9]
	v_add_co_u32 v0, vcc_lo, v41, v2
	v_mov_b32_e32 v21, v12
	v_add_co_ci_u32_e32 v1, vcc_lo, v42, v3, vcc_lo
	v_lshlrev_b64 v[2:3], 3, v[14:15]
	v_add_co_u32 v8, vcc_lo, v41, v8
	v_lshlrev_b64 v[12:13], 3, v[20:21]
	v_add_co_ci_u32_e32 v9, vcc_lo, v42, v9, vcc_lo
	v_add_co_u32 v2, vcc_lo, v41, v2
	v_add_f32_e32 v40, v53, v105
	v_add_f32_e32 v39, v55, v58
	v_add_co_ci_u32_e32 v3, vcc_lo, v42, v3, vcc_lo
	v_add_co_u32 v12, vcc_lo, v41, v12
	v_add_co_ci_u32_e32 v13, vcc_lo, v42, v13, vcc_lo
	global_store_dwordx2 v[4:5], v[18:19], off
	global_store_dwordx2 v[0:1], v[39:40], off
	;; [unrolled: 1-line block ×5, first 2 shown]
	s_endpgm
	.section	.rodata,"a",@progbits
	.p2align	6, 0x0
	.amdhsa_kernel fft_rtc_back_len819_factors_9_7_13_wgs_117_tpt_117_sp_ip_CI_sbrr_dirReg
		.amdhsa_group_segment_fixed_size 0
		.amdhsa_private_segment_fixed_size 0
		.amdhsa_kernarg_size 88
		.amdhsa_user_sgpr_count 6
		.amdhsa_user_sgpr_private_segment_buffer 1
		.amdhsa_user_sgpr_dispatch_ptr 0
		.amdhsa_user_sgpr_queue_ptr 0
		.amdhsa_user_sgpr_kernarg_segment_ptr 1
		.amdhsa_user_sgpr_dispatch_id 0
		.amdhsa_user_sgpr_flat_scratch_init 0
		.amdhsa_user_sgpr_private_segment_size 0
		.amdhsa_wavefront_size32 1
		.amdhsa_uses_dynamic_stack 0
		.amdhsa_system_sgpr_private_segment_wavefront_offset 0
		.amdhsa_system_sgpr_workgroup_id_x 1
		.amdhsa_system_sgpr_workgroup_id_y 0
		.amdhsa_system_sgpr_workgroup_id_z 0
		.amdhsa_system_sgpr_workgroup_info 0
		.amdhsa_system_vgpr_workitem_id 0
		.amdhsa_next_free_vgpr 110
		.amdhsa_next_free_sgpr 23
		.amdhsa_reserve_vcc 1
		.amdhsa_reserve_flat_scratch 0
		.amdhsa_float_round_mode_32 0
		.amdhsa_float_round_mode_16_64 0
		.amdhsa_float_denorm_mode_32 3
		.amdhsa_float_denorm_mode_16_64 3
		.amdhsa_dx10_clamp 1
		.amdhsa_ieee_mode 1
		.amdhsa_fp16_overflow 0
		.amdhsa_workgroup_processor_mode 1
		.amdhsa_memory_ordered 1
		.amdhsa_forward_progress 0
		.amdhsa_shared_vgpr_count 0
		.amdhsa_exception_fp_ieee_invalid_op 0
		.amdhsa_exception_fp_denorm_src 0
		.amdhsa_exception_fp_ieee_div_zero 0
		.amdhsa_exception_fp_ieee_overflow 0
		.amdhsa_exception_fp_ieee_underflow 0
		.amdhsa_exception_fp_ieee_inexact 0
		.amdhsa_exception_int_div_zero 0
	.end_amdhsa_kernel
	.text
.Lfunc_end0:
	.size	fft_rtc_back_len819_factors_9_7_13_wgs_117_tpt_117_sp_ip_CI_sbrr_dirReg, .Lfunc_end0-fft_rtc_back_len819_factors_9_7_13_wgs_117_tpt_117_sp_ip_CI_sbrr_dirReg
                                        ; -- End function
	.section	.AMDGPU.csdata,"",@progbits
; Kernel info:
; codeLenInByte = 7196
; NumSgprs: 25
; NumVgprs: 110
; ScratchSize: 0
; MemoryBound: 0
; FloatMode: 240
; IeeeMode: 1
; LDSByteSize: 0 bytes/workgroup (compile time only)
; SGPRBlocks: 3
; VGPRBlocks: 13
; NumSGPRsForWavesPerEU: 25
; NumVGPRsForWavesPerEU: 110
; Occupancy: 9
; WaveLimiterHint : 1
; COMPUTE_PGM_RSRC2:SCRATCH_EN: 0
; COMPUTE_PGM_RSRC2:USER_SGPR: 6
; COMPUTE_PGM_RSRC2:TRAP_HANDLER: 0
; COMPUTE_PGM_RSRC2:TGID_X_EN: 1
; COMPUTE_PGM_RSRC2:TGID_Y_EN: 0
; COMPUTE_PGM_RSRC2:TGID_Z_EN: 0
; COMPUTE_PGM_RSRC2:TIDIG_COMP_CNT: 0
	.text
	.p2alignl 6, 3214868480
	.fill 48, 4, 3214868480
	.type	__hip_cuid_2a7c08e2b8e7744f,@object ; @__hip_cuid_2a7c08e2b8e7744f
	.section	.bss,"aw",@nobits
	.globl	__hip_cuid_2a7c08e2b8e7744f
__hip_cuid_2a7c08e2b8e7744f:
	.byte	0                               ; 0x0
	.size	__hip_cuid_2a7c08e2b8e7744f, 1

	.ident	"AMD clang version 19.0.0git (https://github.com/RadeonOpenCompute/llvm-project roc-6.4.0 25133 c7fe45cf4b819c5991fe208aaa96edf142730f1d)"
	.section	".note.GNU-stack","",@progbits
	.addrsig
	.addrsig_sym __hip_cuid_2a7c08e2b8e7744f
	.amdgpu_metadata
---
amdhsa.kernels:
  - .args:
      - .actual_access:  read_only
        .address_space:  global
        .offset:         0
        .size:           8
        .value_kind:     global_buffer
      - .offset:         8
        .size:           8
        .value_kind:     by_value
      - .actual_access:  read_only
        .address_space:  global
        .offset:         16
        .size:           8
        .value_kind:     global_buffer
      - .actual_access:  read_only
        .address_space:  global
        .offset:         24
        .size:           8
        .value_kind:     global_buffer
      - .offset:         32
        .size:           8
        .value_kind:     by_value
      - .actual_access:  read_only
        .address_space:  global
        .offset:         40
        .size:           8
        .value_kind:     global_buffer
      - .actual_access:  read_only
        .address_space:  global
        .offset:         48
        .size:           8
        .value_kind:     global_buffer
      - .offset:         56
        .size:           4
        .value_kind:     by_value
      - .actual_access:  read_only
        .address_space:  global
        .offset:         64
        .size:           8
        .value_kind:     global_buffer
      - .actual_access:  read_only
        .address_space:  global
        .offset:         72
        .size:           8
        .value_kind:     global_buffer
      - .address_space:  global
        .offset:         80
        .size:           8
        .value_kind:     global_buffer
    .group_segment_fixed_size: 0
    .kernarg_segment_align: 8
    .kernarg_segment_size: 88
    .language:       OpenCL C
    .language_version:
      - 2
      - 0
    .max_flat_workgroup_size: 117
    .name:           fft_rtc_back_len819_factors_9_7_13_wgs_117_tpt_117_sp_ip_CI_sbrr_dirReg
    .private_segment_fixed_size: 0
    .sgpr_count:     25
    .sgpr_spill_count: 0
    .symbol:         fft_rtc_back_len819_factors_9_7_13_wgs_117_tpt_117_sp_ip_CI_sbrr_dirReg.kd
    .uniform_work_group_size: 1
    .uses_dynamic_stack: false
    .vgpr_count:     110
    .vgpr_spill_count: 0
    .wavefront_size: 32
    .workgroup_processor_mode: 1
amdhsa.target:   amdgcn-amd-amdhsa--gfx1030
amdhsa.version:
  - 1
  - 2
...

	.end_amdgpu_metadata
